;; amdgpu-corpus repo=zjin-lcf/HeCBench kind=compiled arch=gfx1250 opt=O3
	.amdgcn_target "amdgcn-amd-amdhsa--gfx1250"
	.amdhsa_code_object_version 6
	.text
	.protected	_Z10pathfinderPKiS0_PiS1_iiiii ; -- Begin function _Z10pathfinderPKiS0_PiS1_iiiii
	.globl	_Z10pathfinderPKiS0_PiS1_iiiii
	.p2align	8
	.type	_Z10pathfinderPKiS0_PiS1_iiiii,@function
_Z10pathfinderPKiS0_PiS1_iiiii:         ; @_Z10pathfinderPKiS0_PiS1_iiiii
; %bb.0:
	s_clause 0x1
	s_load_b128 s[4:7], s[0:1], 0x20
	s_load_b32 s2, s[0:1], 0x44
	s_bfe_u32 s3, ttmp6, 0x4000c
	s_and_b32 s8, ttmp6, 15
	s_add_co_i32 s3, s3, 1
	s_getreg_b32 s9, hwreg(HW_REG_IB_STS2, 6, 4)
	s_mul_i32 s3, ttmp9, s3
	s_load_b64 s[12:13], s[0:1], 0x8
	s_add_co_i32 s8, s8, s3
	v_lshlrev_b32_e32 v2, 2, v0
	s_wait_kmcnt 0x0
	s_mul_i32 s5, s4, s5
	s_and_b32 s16, s2, 0xffff
	s_lshl_b32 s2, s5, 1
	s_delay_alu instid0(SALU_CYCLE_1) | instskip(SKIP_2) | instid1(SALU_CYCLE_1)
	s_sub_co_i32 s14, s16, s2
	s_cmp_eq_u32 s9, 0
	s_cselect_b32 s2, ttmp9, s8
	s_mul_i32 s14, s14, s2
	s_delay_alu instid0(SALU_CYCLE_1) | instskip(NEXT) | instid1(SALU_CYCLE_1)
	s_sub_co_i32 s3, s14, s6
	v_add_nc_u32_e32 v1, s3, v0
	s_delay_alu instid0(VALU_DEP_1) | instskip(SKIP_2) | instid1(SALU_CYCLE_1)
	v_cmp_lt_i32_e32 vcc_lo, -1, v1
	v_cmp_gt_i32_e64 s2, s7, v1
	s_and_b32 s5, vcc_lo, s2
	s_and_saveexec_b32 s2, s5
	s_cbranch_execz .LBB0_2
; %bb.1:
	global_load_b32 v3, v1, s[12:13] scale_offset
	s_wait_loadcnt 0x0
	ds_store_b32 v2, v3
.LBB0_2:
	s_or_b32 exec_lo, exec_lo, s2
	s_load_b64 s[8:9], s[0:1], 0x10
	s_cmp_lt_i32 s4, 1
	s_wait_dscnt 0x0
	s_barrier_signal -1
	s_barrier_wait -1
	s_cbranch_scc1 .LBB0_22
; %bb.3:
	s_sub_co_i32 s2, 0, s3
	s_ashr_i32 s5, s3, 31
	s_add_co_i32 s3, s3, s16
	s_clause 0x1
	s_load_b64 s[10:11], s[0:1], 0x0
	s_load_b32 s15, s[0:1], 0x30
	s_and_b32 s2, s5, s2
	s_sub_co_i32 s5, s7, s3
	s_cmp_lt_i32 s7, s3
	v_add_max_i32_e64 v3, v0, -1, s2
	s_cselect_b32 s3, s5, 0
	v_cmp_le_i32_e64 s2, s2, v0
	s_add_co_i32 s3, s16, s3
	v_add_nc_u32_e32 v5, 0x3f0, v2
	s_add_co_i32 s3, s3, -1
	s_mov_b32 s5, 0
	v_add_min_i32_e64 v4, v0, 1, s3
	v_lshlrev_b32_e32 v3, 2, v3
	v_cmp_ge_i32_e64 s3, s3, v0
	s_add_co_i32 s16, s16, -2
	s_mov_b32 s17, exec_lo
	v_lshlrev_b32_e32 v4, 2, v4
	v_cmpx_ne_u32_e32 0, v0
	s_cbranch_execz .LBB0_9
; %bb.4:
	v_cmp_ge_i32_e32 vcc_lo, s16, v0
	s_mov_b32 s18, 0
	s_and_b32 s5, vcc_lo, s2
	s_delay_alu instid0(SALU_CYCLE_1) | instskip(NEXT) | instid1(SALU_CYCLE_1)
	s_and_b32 s19, s5, s3
	s_and_saveexec_b32 s5, s19
	s_cbranch_execz .LBB0_8
; %bb.5:
	s_wait_kmcnt 0x0
	v_mad_u32 v6, s15, s7, v1
	s_mov_b32 s18, exec_lo
	global_load_b32 v6, v6, s[10:11] scale_offset
	ds_load_b32 v7, v2
	ds_load_b32 v8, v3
	;; [unrolled: 1-line block ×3, first 2 shown]
	s_wait_dscnt 0x0
	v_min3_i32 v7, v8, v7, v9
	s_wait_loadcnt 0x0
	s_delay_alu instid0(VALU_DEP_1)
	v_add_nc_u32_e32 v6, v7, v6
	ds_store_b32 v5, v6
	v_cmpx_eq_u32_e32 11, v0
	s_cbranch_execz .LBB0_7
; %bb.6:
	global_load_b32 v6, v1, s[12:13] scale_offset
	s_load_b64 s[0:1], s[0:1], 0x18
	v_mov_b32_e32 v7, 1
	s_wait_loadcnt 0x0
	s_wait_kmcnt 0x0
	global_store_b32 v6, v7, s[0:1] scale_offset
.LBB0_7:
	s_wait_xcnt 0x0
	s_or_b32 exec_lo, exec_lo, s18
	s_delay_alu instid0(SALU_CYCLE_1)
	s_mov_b32 s18, exec_lo
.LBB0_8:
	s_or_b32 exec_lo, exec_lo, s5
	s_delay_alu instid0(SALU_CYCLE_1)
	s_and_b32 s5, s18, exec_lo
.LBB0_9:
	s_or_b32 exec_lo, exec_lo, s17
	s_cmp_eq_u32 s4, 1
	s_wait_storecnt_dscnt 0x0
	s_barrier_signal -1
	s_barrier_wait -1
	s_cbranch_scc1 .LBB0_23
; %bb.10:
	s_wait_xcnt 0x0
	s_and_saveexec_b32 s0, s5
	s_cbranch_execz .LBB0_12
; %bb.11:
	ds_load_b32 v6, v5
	s_wait_dscnt 0x0
	ds_store_b32 v2, v6
.LBB0_12:
	s_or_b32 exec_lo, exec_lo, s0
	s_wait_kmcnt 0x0
	s_add_co_i32 s15, s15, 1
	v_sub_nc_u32_e32 v6, s16, v0
	s_mul_i32 s0, s7, s15
	s_wait_dscnt 0x0
	v_add3_u32 v7, s0, s14, v0
	s_mov_b32 s0, 2
	s_barrier_signal -1
	s_barrier_wait -1
	s_delay_alu instid0(VALU_DEP_1)
	v_subrev_nc_u32_e32 v7, s6, v7
                                        ; implicit-def: $sgpr5
	s_branch .LBB0_14
.LBB0_13:                               ;   in Loop: Header=BB0_14 Depth=1
	s_or_b32 exec_lo, exec_lo, s1
	v_add_nc_u32_e32 v7, s7, v7
	s_add_co_i32 s0, s0, 1
	s_wait_dscnt 0x0
	s_barrier_signal -1
	s_barrier_wait -1
.LBB0_14:                               ; =>This Inner Loop Header: Depth=1
	s_add_co_i32 s6, s0, -1
	s_and_not1_b32 s5, s5, exec_lo
	s_mov_b32 s1, exec_lo
	v_cmpx_lt_u32_e64 s6, v0
	s_cbranch_execz .LBB0_18
; %bb.15:                               ;   in Loop: Header=BB0_14 Depth=1
	v_cmp_le_i32_e32 vcc_lo, s6, v6
	s_and_b32 s6, vcc_lo, s2
	s_delay_alu instid0(SALU_CYCLE_1)
	s_and_b32 s13, s6, s3
	s_mov_b32 s6, 0
	s_and_saveexec_b32 s12, s13
	s_cbranch_execz .LBB0_17
; %bb.16:                               ;   in Loop: Header=BB0_14 Depth=1
	global_load_b32 v8, v7, s[10:11] scale_offset
	ds_load_b32 v9, v2
	ds_load_b32 v10, v3
	;; [unrolled: 1-line block ×3, first 2 shown]
	s_mov_b32 s6, exec_lo
	s_wait_dscnt 0x0
	v_min3_i32 v9, v10, v9, v11
	s_wait_loadcnt 0x0
	s_delay_alu instid0(VALU_DEP_1)
	v_add_nc_u32_e32 v8, v9, v8
	ds_store_b32 v5, v8
.LBB0_17:                               ;   in Loop: Header=BB0_14 Depth=1
	s_or_b32 exec_lo, exec_lo, s12
	s_delay_alu instid0(SALU_CYCLE_1) | instskip(SKIP_1) | instid1(SALU_CYCLE_1)
	s_and_not1_b32 s5, s5, exec_lo
	s_and_b32 s6, s6, exec_lo
	s_or_b32 s5, s5, s6
.LBB0_18:                               ;   in Loop: Header=BB0_14 Depth=1
	s_or_b32 exec_lo, exec_lo, s1
	s_cmp_eq_u32 s4, s0
	s_wait_dscnt 0x0
	s_barrier_signal -1
	s_barrier_wait -1
	s_cbranch_scc1 .LBB0_21
; %bb.19:                               ;   in Loop: Header=BB0_14 Depth=1
	s_and_saveexec_b32 s1, s5
	s_cbranch_execz .LBB0_13
; %bb.20:                               ;   in Loop: Header=BB0_14 Depth=1
	ds_load_b32 v8, v5
	s_wait_dscnt 0x0
	ds_store_b32 v2, v8
	s_branch .LBB0_13
.LBB0_21:                               ;   in Loop: Header=BB0_14 Depth=1
                                        ; implicit-def: $sgpr0
                                        ; implicit-def: $vgpr7
	s_cbranch_execz .LBB0_14
	s_branch .LBB0_23
.LBB0_22:
                                        ; implicit-def: $sgpr5
.LBB0_23:
	s_wait_xcnt 0x0
	s_and_saveexec_b32 s0, s5
	s_cbranch_execz .LBB0_25
; %bb.24:
	ds_load_b32 v0, v2 offset:1008
	s_wait_dscnt 0x0
	s_wait_kmcnt 0x0
	global_store_b32 v1, v0, s[8:9] scale_offset
.LBB0_25:
	s_endpgm
	.section	.rodata,"a",@progbits
	.p2align	6, 0x0
	.amdhsa_kernel _Z10pathfinderPKiS0_PiS1_iiiii
		.amdhsa_group_segment_fixed_size 2008
		.amdhsa_private_segment_fixed_size 0
		.amdhsa_kernarg_size 312
		.amdhsa_user_sgpr_count 2
		.amdhsa_user_sgpr_dispatch_ptr 0
		.amdhsa_user_sgpr_queue_ptr 0
		.amdhsa_user_sgpr_kernarg_segment_ptr 1
		.amdhsa_user_sgpr_dispatch_id 0
		.amdhsa_user_sgpr_kernarg_preload_length 0
		.amdhsa_user_sgpr_kernarg_preload_offset 0
		.amdhsa_user_sgpr_private_segment_size 0
		.amdhsa_wavefront_size32 1
		.amdhsa_uses_dynamic_stack 0
		.amdhsa_enable_private_segment 0
		.amdhsa_system_sgpr_workgroup_id_x 1
		.amdhsa_system_sgpr_workgroup_id_y 0
		.amdhsa_system_sgpr_workgroup_id_z 0
		.amdhsa_system_sgpr_workgroup_info 0
		.amdhsa_system_vgpr_workitem_id 0
		.amdhsa_next_free_vgpr 12
		.amdhsa_next_free_sgpr 20
		.amdhsa_named_barrier_count 0
		.amdhsa_reserve_vcc 1
		.amdhsa_float_round_mode_32 0
		.amdhsa_float_round_mode_16_64 0
		.amdhsa_float_denorm_mode_32 3
		.amdhsa_float_denorm_mode_16_64 3
		.amdhsa_fp16_overflow 0
		.amdhsa_memory_ordered 1
		.amdhsa_forward_progress 1
		.amdhsa_inst_pref_size 8
		.amdhsa_round_robin_scheduling 0
		.amdhsa_exception_fp_ieee_invalid_op 0
		.amdhsa_exception_fp_denorm_src 0
		.amdhsa_exception_fp_ieee_div_zero 0
		.amdhsa_exception_fp_ieee_overflow 0
		.amdhsa_exception_fp_ieee_underflow 0
		.amdhsa_exception_fp_ieee_inexact 0
		.amdhsa_exception_int_div_zero 0
	.end_amdhsa_kernel
	.text
.Lfunc_end0:
	.size	_Z10pathfinderPKiS0_PiS1_iiiii, .Lfunc_end0-_Z10pathfinderPKiS0_PiS1_iiiii
                                        ; -- End function
	.set _Z10pathfinderPKiS0_PiS1_iiiii.num_vgpr, 12
	.set _Z10pathfinderPKiS0_PiS1_iiiii.num_agpr, 0
	.set _Z10pathfinderPKiS0_PiS1_iiiii.numbered_sgpr, 20
	.set _Z10pathfinderPKiS0_PiS1_iiiii.num_named_barrier, 0
	.set _Z10pathfinderPKiS0_PiS1_iiiii.private_seg_size, 0
	.set _Z10pathfinderPKiS0_PiS1_iiiii.uses_vcc, 1
	.set _Z10pathfinderPKiS0_PiS1_iiiii.uses_flat_scratch, 0
	.set _Z10pathfinderPKiS0_PiS1_iiiii.has_dyn_sized_stack, 0
	.set _Z10pathfinderPKiS0_PiS1_iiiii.has_recursion, 0
	.set _Z10pathfinderPKiS0_PiS1_iiiii.has_indirect_call, 0
	.section	.AMDGPU.csdata,"",@progbits
; Kernel info:
; codeLenInByte = 900
; TotalNumSgprs: 22
; NumVgprs: 12
; ScratchSize: 0
; MemoryBound: 0
; FloatMode: 240
; IeeeMode: 1
; LDSByteSize: 2008 bytes/workgroup (compile time only)
; SGPRBlocks: 0
; VGPRBlocks: 0
; NumSGPRsForWavesPerEU: 22
; NumVGPRsForWavesPerEU: 12
; NamedBarCnt: 0
; Occupancy: 16
; WaveLimiterHint : 1
; COMPUTE_PGM_RSRC2:SCRATCH_EN: 0
; COMPUTE_PGM_RSRC2:USER_SGPR: 2
; COMPUTE_PGM_RSRC2:TRAP_HANDLER: 0
; COMPUTE_PGM_RSRC2:TGID_X_EN: 1
; COMPUTE_PGM_RSRC2:TGID_Y_EN: 0
; COMPUTE_PGM_RSRC2:TGID_Z_EN: 0
; COMPUTE_PGM_RSRC2:TIDIG_COMP_CNT: 0
	.text
	.p2alignl 7, 3214868480
	.fill 96, 4, 3214868480
	.section	.AMDGPU.gpr_maximums,"",@progbits
	.set amdgpu.max_num_vgpr, 0
	.set amdgpu.max_num_agpr, 0
	.set amdgpu.max_num_sgpr, 0
	.text
	.type	__hip_cuid_271049b2beb1ece6,@object ; @__hip_cuid_271049b2beb1ece6
	.section	.bss,"aw",@nobits
	.globl	__hip_cuid_271049b2beb1ece6
__hip_cuid_271049b2beb1ece6:
	.byte	0                               ; 0x0
	.size	__hip_cuid_271049b2beb1ece6, 1

	.ident	"AMD clang version 22.0.0git (https://github.com/RadeonOpenCompute/llvm-project roc-7.2.4 26084 f58b06dce1f9c15707c5f808fd002e18c2accf7e)"
	.section	".note.GNU-stack","",@progbits
	.addrsig
	.addrsig_sym __hip_cuid_271049b2beb1ece6
	.amdgpu_metadata
---
amdhsa.kernels:
  - .args:
      - .actual_access:  read_only
        .address_space:  global
        .offset:         0
        .size:           8
        .value_kind:     global_buffer
      - .actual_access:  read_only
        .address_space:  global
        .offset:         8
        .size:           8
        .value_kind:     global_buffer
      - .actual_access:  write_only
        .address_space:  global
        .offset:         16
        .size:           8
        .value_kind:     global_buffer
      - .actual_access:  write_only
        .address_space:  global
        .offset:         24
        .size:           8
        .value_kind:     global_buffer
      - .offset:         32
        .size:           4
        .value_kind:     by_value
      - .offset:         36
        .size:           4
        .value_kind:     by_value
      - .offset:         40
        .size:           4
        .value_kind:     by_value
      - .offset:         44
        .size:           4
        .value_kind:     by_value
      - .offset:         48
        .size:           4
        .value_kind:     by_value
      - .offset:         56
        .size:           4
        .value_kind:     hidden_block_count_x
      - .offset:         60
        .size:           4
        .value_kind:     hidden_block_count_y
      - .offset:         64
        .size:           4
        .value_kind:     hidden_block_count_z
      - .offset:         68
        .size:           2
        .value_kind:     hidden_group_size_x
      - .offset:         70
        .size:           2
        .value_kind:     hidden_group_size_y
      - .offset:         72
        .size:           2
        .value_kind:     hidden_group_size_z
      - .offset:         74
        .size:           2
        .value_kind:     hidden_remainder_x
      - .offset:         76
        .size:           2
        .value_kind:     hidden_remainder_y
      - .offset:         78
        .size:           2
        .value_kind:     hidden_remainder_z
      - .offset:         96
        .size:           8
        .value_kind:     hidden_global_offset_x
      - .offset:         104
        .size:           8
        .value_kind:     hidden_global_offset_y
      - .offset:         112
        .size:           8
        .value_kind:     hidden_global_offset_z
      - .offset:         120
        .size:           2
        .value_kind:     hidden_grid_dims
    .group_segment_fixed_size: 2008
    .kernarg_segment_align: 8
    .kernarg_segment_size: 312
    .language:       OpenCL C
    .language_version:
      - 2
      - 0
    .max_flat_workgroup_size: 1024
    .name:           _Z10pathfinderPKiS0_PiS1_iiiii
    .private_segment_fixed_size: 0
    .sgpr_count:     22
    .sgpr_spill_count: 0
    .symbol:         _Z10pathfinderPKiS0_PiS1_iiiii.kd
    .uniform_work_group_size: 1
    .uses_dynamic_stack: false
    .vgpr_count:     12
    .vgpr_spill_count: 0
    .wavefront_size: 32
amdhsa.target:   amdgcn-amd-amdhsa--gfx1250
amdhsa.version:
  - 1
  - 2
...

	.end_amdgpu_metadata
